;; amdgpu-corpus repo=ROCm/rocFFT kind=compiled arch=gfx906 opt=O3
	.text
	.amdgcn_target "amdgcn-amd-amdhsa--gfx906"
	.amdhsa_code_object_version 6
	.protected	fft_rtc_back_len154_factors_11_7_2_wgs_110_tpt_22_sp_op_CI_CI_unitstride_sbrr_C2R_dirReg ; -- Begin function fft_rtc_back_len154_factors_11_7_2_wgs_110_tpt_22_sp_op_CI_CI_unitstride_sbrr_C2R_dirReg
	.globl	fft_rtc_back_len154_factors_11_7_2_wgs_110_tpt_22_sp_op_CI_CI_unitstride_sbrr_C2R_dirReg
	.p2align	8
	.type	fft_rtc_back_len154_factors_11_7_2_wgs_110_tpt_22_sp_op_CI_CI_unitstride_sbrr_C2R_dirReg,@function
fft_rtc_back_len154_factors_11_7_2_wgs_110_tpt_22_sp_op_CI_CI_unitstride_sbrr_C2R_dirReg: ; @fft_rtc_back_len154_factors_11_7_2_wgs_110_tpt_22_sp_op_CI_CI_unitstride_sbrr_C2R_dirReg
; %bb.0:
	s_load_dwordx4 s[8:11], s[4:5], 0x58
	s_load_dwordx4 s[12:15], s[4:5], 0x0
	;; [unrolled: 1-line block ×3, first 2 shown]
	v_mul_u32_u24_e32 v1, 0xba3, v0
	v_lshrrev_b32_e32 v1, 16, v1
	v_mad_u64_u32 v[3:4], s[0:1], s6, 5, v[1:2]
	v_mov_b32_e32 v5, 0
	v_mov_b32_e32 v1, 0
	;; [unrolled: 1-line block ×3, first 2 shown]
	s_waitcnt lgkmcnt(0)
	v_cmp_lt_u64_e64 s[0:1], s[14:15], 2
	v_mov_b32_e32 v2, 0
	v_mov_b32_e32 v25, v2
	;; [unrolled: 1-line block ×3, first 2 shown]
	s_and_b64 vcc, exec, s[0:1]
	v_mov_b32_e32 v24, v1
	v_mov_b32_e32 v26, v3
	s_cbranch_vccnz .LBB0_8
; %bb.1:
	s_load_dwordx2 s[0:1], s[4:5], 0x10
	s_add_u32 s2, s18, 8
	s_addc_u32 s3, s19, 0
	s_add_u32 s6, s16, 8
	v_mov_b32_e32 v1, 0
	s_addc_u32 s7, s17, 0
	v_mov_b32_e32 v2, 0
	s_waitcnt lgkmcnt(0)
	s_add_u32 s20, s0, 8
	v_mov_b32_e32 v25, v2
	v_mov_b32_e32 v8, v4
	s_addc_u32 s21, s1, 0
	s_mov_b64 s[22:23], 1
	v_mov_b32_e32 v24, v1
	v_mov_b32_e32 v7, v3
.LBB0_2:                                ; =>This Inner Loop Header: Depth=1
	s_load_dwordx2 s[24:25], s[20:21], 0x0
                                        ; implicit-def: $vgpr26_vgpr27
	s_waitcnt lgkmcnt(0)
	v_or_b32_e32 v6, s25, v8
	v_cmp_ne_u64_e32 vcc, 0, v[5:6]
	s_and_saveexec_b64 s[0:1], vcc
	s_xor_b64 s[26:27], exec, s[0:1]
	s_cbranch_execz .LBB0_4
; %bb.3:                                ;   in Loop: Header=BB0_2 Depth=1
	v_cvt_f32_u32_e32 v4, s24
	v_cvt_f32_u32_e32 v6, s25
	s_sub_u32 s0, 0, s24
	s_subb_u32 s1, 0, s25
	v_mac_f32_e32 v4, 0x4f800000, v6
	v_rcp_f32_e32 v4, v4
	v_mul_f32_e32 v4, 0x5f7ffffc, v4
	v_mul_f32_e32 v6, 0x2f800000, v4
	v_trunc_f32_e32 v6, v6
	v_mac_f32_e32 v4, 0xcf800000, v6
	v_cvt_u32_f32_e32 v6, v6
	v_cvt_u32_f32_e32 v4, v4
	v_mul_lo_u32 v9, s0, v6
	v_mul_hi_u32 v10, s0, v4
	v_mul_lo_u32 v12, s1, v4
	v_mul_lo_u32 v11, s0, v4
	v_add_u32_e32 v9, v10, v9
	v_add_u32_e32 v9, v9, v12
	v_mul_hi_u32 v10, v4, v11
	v_mul_lo_u32 v12, v4, v9
	v_mul_hi_u32 v14, v4, v9
	v_mul_hi_u32 v13, v6, v11
	v_mul_lo_u32 v11, v6, v11
	v_mul_hi_u32 v15, v6, v9
	v_add_co_u32_e32 v10, vcc, v10, v12
	v_addc_co_u32_e32 v12, vcc, 0, v14, vcc
	v_mul_lo_u32 v9, v6, v9
	v_add_co_u32_e32 v10, vcc, v10, v11
	v_addc_co_u32_e32 v10, vcc, v12, v13, vcc
	v_addc_co_u32_e32 v11, vcc, 0, v15, vcc
	v_add_co_u32_e32 v9, vcc, v10, v9
	v_addc_co_u32_e32 v10, vcc, 0, v11, vcc
	v_add_co_u32_e32 v4, vcc, v4, v9
	v_addc_co_u32_e32 v6, vcc, v6, v10, vcc
	v_mul_lo_u32 v9, s0, v6
	v_mul_hi_u32 v10, s0, v4
	v_mul_lo_u32 v11, s1, v4
	v_mul_lo_u32 v12, s0, v4
	v_add_u32_e32 v9, v10, v9
	v_add_u32_e32 v9, v9, v11
	v_mul_lo_u32 v13, v4, v9
	v_mul_hi_u32 v14, v4, v12
	v_mul_hi_u32 v15, v4, v9
	;; [unrolled: 1-line block ×3, first 2 shown]
	v_mul_lo_u32 v12, v6, v12
	v_mul_hi_u32 v10, v6, v9
	v_add_co_u32_e32 v13, vcc, v14, v13
	v_addc_co_u32_e32 v14, vcc, 0, v15, vcc
	v_mul_lo_u32 v9, v6, v9
	v_add_co_u32_e32 v12, vcc, v13, v12
	v_addc_co_u32_e32 v11, vcc, v14, v11, vcc
	v_addc_co_u32_e32 v10, vcc, 0, v10, vcc
	v_add_co_u32_e32 v9, vcc, v11, v9
	v_addc_co_u32_e32 v10, vcc, 0, v10, vcc
	v_add_co_u32_e32 v4, vcc, v4, v9
	v_addc_co_u32_e32 v6, vcc, v6, v10, vcc
	v_mad_u64_u32 v[9:10], s[0:1], v7, v6, 0
	v_mul_hi_u32 v11, v7, v4
	v_add_co_u32_e32 v13, vcc, v11, v9
	v_addc_co_u32_e32 v14, vcc, 0, v10, vcc
	v_mad_u64_u32 v[9:10], s[0:1], v8, v4, 0
	v_mad_u64_u32 v[11:12], s[0:1], v8, v6, 0
	v_add_co_u32_e32 v4, vcc, v13, v9
	v_addc_co_u32_e32 v4, vcc, v14, v10, vcc
	v_addc_co_u32_e32 v6, vcc, 0, v12, vcc
	v_add_co_u32_e32 v4, vcc, v4, v11
	v_addc_co_u32_e32 v6, vcc, 0, v6, vcc
	v_mul_lo_u32 v11, s25, v4
	v_mul_lo_u32 v12, s24, v6
	v_mad_u64_u32 v[9:10], s[0:1], s24, v4, 0
	v_add3_u32 v10, v10, v12, v11
	v_sub_u32_e32 v11, v8, v10
	v_mov_b32_e32 v12, s25
	v_sub_co_u32_e32 v9, vcc, v7, v9
	v_subb_co_u32_e64 v11, s[0:1], v11, v12, vcc
	v_subrev_co_u32_e64 v12, s[0:1], s24, v9
	v_subbrev_co_u32_e64 v11, s[0:1], 0, v11, s[0:1]
	v_cmp_le_u32_e64 s[0:1], s25, v11
	v_cndmask_b32_e64 v13, 0, -1, s[0:1]
	v_cmp_le_u32_e64 s[0:1], s24, v12
	v_cndmask_b32_e64 v12, 0, -1, s[0:1]
	v_cmp_eq_u32_e64 s[0:1], s25, v11
	v_cndmask_b32_e64 v11, v13, v12, s[0:1]
	v_add_co_u32_e64 v12, s[0:1], 2, v4
	v_addc_co_u32_e64 v13, s[0:1], 0, v6, s[0:1]
	v_add_co_u32_e64 v14, s[0:1], 1, v4
	v_addc_co_u32_e64 v15, s[0:1], 0, v6, s[0:1]
	v_subb_co_u32_e32 v10, vcc, v8, v10, vcc
	v_cmp_ne_u32_e64 s[0:1], 0, v11
	v_cmp_le_u32_e32 vcc, s25, v10
	v_cndmask_b32_e64 v11, v15, v13, s[0:1]
	v_cndmask_b32_e64 v13, 0, -1, vcc
	v_cmp_le_u32_e32 vcc, s24, v9
	v_cndmask_b32_e64 v9, 0, -1, vcc
	v_cmp_eq_u32_e32 vcc, s25, v10
	v_cndmask_b32_e32 v9, v13, v9, vcc
	v_cmp_ne_u32_e32 vcc, 0, v9
	v_cndmask_b32_e32 v27, v6, v11, vcc
	v_cndmask_b32_e64 v6, v14, v12, s[0:1]
	v_cndmask_b32_e32 v26, v4, v6, vcc
.LBB0_4:                                ;   in Loop: Header=BB0_2 Depth=1
	s_andn2_saveexec_b64 s[0:1], s[26:27]
	s_cbranch_execz .LBB0_6
; %bb.5:                                ;   in Loop: Header=BB0_2 Depth=1
	v_cvt_f32_u32_e32 v4, s24
	s_sub_i32 s26, 0, s24
	v_mov_b32_e32 v27, v5
	v_rcp_iflag_f32_e32 v4, v4
	v_mul_f32_e32 v4, 0x4f7ffffe, v4
	v_cvt_u32_f32_e32 v4, v4
	v_mul_lo_u32 v6, s26, v4
	v_mul_hi_u32 v6, v4, v6
	v_add_u32_e32 v4, v4, v6
	v_mul_hi_u32 v4, v7, v4
	v_mul_lo_u32 v6, v4, s24
	v_add_u32_e32 v9, 1, v4
	v_sub_u32_e32 v6, v7, v6
	v_subrev_u32_e32 v10, s24, v6
	v_cmp_le_u32_e32 vcc, s24, v6
	v_cndmask_b32_e32 v6, v6, v10, vcc
	v_cndmask_b32_e32 v4, v4, v9, vcc
	v_add_u32_e32 v9, 1, v4
	v_cmp_le_u32_e32 vcc, s24, v6
	v_cndmask_b32_e32 v26, v4, v9, vcc
.LBB0_6:                                ;   in Loop: Header=BB0_2 Depth=1
	s_or_b64 exec, exec, s[0:1]
	v_mul_lo_u32 v4, v27, s24
	v_mul_lo_u32 v6, v26, s25
	v_mad_u64_u32 v[9:10], s[0:1], v26, s24, 0
	s_load_dwordx2 s[0:1], s[6:7], 0x0
	s_load_dwordx2 s[24:25], s[2:3], 0x0
	v_add3_u32 v4, v10, v6, v4
	v_sub_co_u32_e32 v6, vcc, v7, v9
	v_subb_co_u32_e32 v4, vcc, v8, v4, vcc
	s_waitcnt lgkmcnt(0)
	v_mul_lo_u32 v7, s0, v4
	v_mul_lo_u32 v8, s1, v6
	v_mad_u64_u32 v[1:2], s[0:1], s0, v6, v[1:2]
	s_add_u32 s22, s22, 1
	s_addc_u32 s23, s23, 0
	s_add_u32 s2, s2, 8
	v_mul_lo_u32 v4, s24, v4
	v_mul_lo_u32 v9, s25, v6
	v_mad_u64_u32 v[24:25], s[0:1], s24, v6, v[24:25]
	v_add3_u32 v2, v8, v2, v7
	s_addc_u32 s3, s3, 0
	v_mov_b32_e32 v6, s14
	s_add_u32 s6, s6, 8
	v_mov_b32_e32 v7, s15
	s_addc_u32 s7, s7, 0
	v_cmp_ge_u64_e32 vcc, s[22:23], v[6:7]
	s_add_u32 s20, s20, 8
	v_add3_u32 v25, v9, v25, v4
	s_addc_u32 s21, s21, 0
	s_cbranch_vccnz .LBB0_8
; %bb.7:                                ;   in Loop: Header=BB0_2 Depth=1
	v_mov_b32_e32 v7, v26
	v_mov_b32_e32 v8, v27
	s_branch .LBB0_2
.LBB0_8:
	s_mov_b32 s2, 0xcccccccd
	s_load_dwordx2 s[0:1], s[4:5], 0x28
	v_mul_hi_u32 v4, v3, s2
	s_lshl_b64 s[6:7], s[14:15], 3
	s_add_u32 s4, s18, s6
	s_addc_u32 s5, s19, s7
	v_lshrrev_b32_e32 v4, 2, v4
	v_lshl_add_u32 v4, v4, 2, v4
	s_waitcnt lgkmcnt(0)
	v_cmp_gt_u64_e32 vcc, s[0:1], v[26:27]
	v_cmp_le_u64_e64 s[0:1], s[0:1], v[26:27]
	v_sub_u32_e32 v5, v3, v4
                                        ; implicit-def: $vgpr28
                                        ; implicit-def: $vgpr3_vgpr4
	s_and_saveexec_b64 s[2:3], s[0:1]
	s_xor_b64 s[0:1], exec, s[2:3]
; %bb.9:
	s_mov_b32 s2, 0xba2e8bb
	v_mul_hi_u32 v1, v0, s2
	v_mov_b32_e32 v29, 0
	v_mul_u32_u24_e32 v1, 22, v1
	v_sub_u32_e32 v28, v0, v1
	v_mov_b32_e32 v3, v28
	v_mov_b32_e32 v4, v29
                                        ; implicit-def: $vgpr0
                                        ; implicit-def: $vgpr1_vgpr2
; %bb.10:
	s_or_saveexec_b64 s[2:3], s[0:1]
	s_load_dwordx2 s[4:5], s[4:5], 0x0
	v_mul_u32_u24_e32 v5, 0x9b, v5
	v_lshlrev_b32_e32 v35, 3, v5
	s_xor_b64 exec, exec, s[2:3]
	s_cbranch_execz .LBB0_14
; %bb.11:
	s_add_u32 s0, s16, s6
	s_addc_u32 s1, s17, s7
	s_load_dwordx2 s[0:1], s[0:1], 0x0
	s_mov_b32 s6, 0xba2e8bb
	v_mul_hi_u32 v6, v0, s6
	v_mov_b32_e32 v29, 0
	s_waitcnt lgkmcnt(0)
	v_mul_lo_u32 v7, s1, v26
	v_mul_lo_u32 v8, s0, v27
	v_mad_u64_u32 v[3:4], s[0:1], s0, v26, 0
	v_mul_u32_u24_e32 v6, 22, v6
	v_sub_u32_e32 v28, v0, v6
	v_add3_u32 v4, v4, v8, v7
	v_lshlrev_b64 v[3:4], 3, v[3:4]
	v_mov_b32_e32 v0, s9
	v_add_co_u32_e64 v3, s[0:1], s8, v3
	v_addc_co_u32_e64 v4, s[0:1], v0, v4, s[0:1]
	v_lshlrev_b64 v[0:1], 3, v[1:2]
	v_add_co_u32_e64 v0, s[0:1], v3, v0
	v_addc_co_u32_e64 v1, s[0:1], v4, v1, s[0:1]
	v_lshlrev_b32_e32 v4, 3, v28
	v_add_co_u32_e64 v2, s[0:1], v0, v4
	v_addc_co_u32_e64 v3, s[0:1], 0, v1, s[0:1]
	global_load_dwordx2 v[6:7], v[2:3], off
	global_load_dwordx2 v[8:9], v[2:3], off offset:176
	global_load_dwordx2 v[10:11], v[2:3], off offset:352
	;; [unrolled: 1-line block ×6, first 2 shown]
	v_add3_u32 v2, 0, v35, v4
	v_mov_b32_e32 v3, v28
	v_cmp_eq_u32_e64 s[0:1], 21, v28
	v_mov_b32_e32 v4, v29
	s_waitcnt vmcnt(5)
	ds_write2_b64 v2, v[6:7], v[8:9] offset1:22
	s_waitcnt vmcnt(3)
	ds_write2_b64 v2, v[10:11], v[12:13] offset0:44 offset1:66
	s_waitcnt vmcnt(1)
	ds_write2_b64 v2, v[14:15], v[16:17] offset0:88 offset1:110
	s_waitcnt vmcnt(0)
	ds_write_b64 v2, v[18:19] offset:1056
	s_and_saveexec_b64 s[6:7], s[0:1]
	s_cbranch_execz .LBB0_13
; %bb.12:
	global_load_dwordx2 v[0:1], v[0:1], off offset:1232
	v_mov_b32_e32 v3, 21
	v_mov_b32_e32 v4, 0
	;; [unrolled: 1-line block ×3, first 2 shown]
	s_waitcnt vmcnt(0)
	ds_write_b64 v2, v[0:1] offset:1064
.LBB0_13:
	s_or_b64 exec, exec, s[6:7]
.LBB0_14:
	s_or_b64 exec, exec, s[2:3]
	v_lshl_add_u32 v34, v5, 3, 0
	v_lshlrev_b32_e32 v0, 3, v28
	v_add_u32_e32 v36, v34, v0
	s_waitcnt lgkmcnt(0)
	s_barrier
	v_sub_u32_e32 v2, v34, v0
	ds_read_b32 v1, v36
	ds_read_b32 v6, v2 offset:1232
	v_lshlrev_b64 v[30:31], 3, v[3:4]
	v_cmp_ne_u32_e64 s[0:1], 0, v28
	s_waitcnt lgkmcnt(0)
	v_add_f32_e32 v0, v6, v1
	v_sub_f32_e32 v1, v1, v6
	s_and_saveexec_b64 s[2:3], s[0:1]
	s_xor_b64 s[2:3], exec, s[2:3]
	s_cbranch_execz .LBB0_16
; %bb.15:
	v_mov_b32_e32 v4, s13
	v_add_co_u32_e64 v3, s[0:1], s12, v30
	v_addc_co_u32_e64 v4, s[0:1], v4, v31, s[0:1]
	global_load_dwordx2 v[3:4], v[3:4], off offset:1144
	ds_read_b32 v6, v2 offset:1236
	ds_read_b32 v7, v36 offset:4
	s_waitcnt lgkmcnt(0)
	v_add_f32_e32 v10, v6, v7
	v_sub_f32_e32 v6, v7, v6
	s_waitcnt vmcnt(0)
	v_fma_f32 v11, v1, v4, v0
	v_fma_f32 v7, v10, v4, v6
	v_fma_f32 v8, -v1, v4, v0
	v_fma_f32 v9, v10, v4, -v6
	v_fma_f32 v6, -v3, v10, v11
	v_fmac_f32_e32 v7, v1, v3
	v_fmac_f32_e32 v8, v3, v10
	;; [unrolled: 1-line block ×3, first 2 shown]
	ds_write_b64 v36, v[6:7]
	ds_write_b64 v2, v[8:9] offset:1232
                                        ; implicit-def: $vgpr0
.LBB0_16:
	s_andn2_saveexec_b64 s[0:1], s[2:3]
	s_cbranch_execz .LBB0_18
; %bb.17:
	ds_write_b64 v36, v[0:1]
	ds_read_b64 v[0:1], v34 offset:616
	s_waitcnt lgkmcnt(0)
	v_add_f32_e32 v0, v0, v0
	v_mul_f32_e32 v1, -2.0, v1
	ds_write_b64 v34, v[0:1] offset:616
.LBB0_18:
	s_or_b64 exec, exec, s[0:1]
	v_mov_b32_e32 v29, 0
	s_add_u32 s0, s12, 0x478
	v_lshlrev_b64 v[32:33], 3, v[28:29]
	s_addc_u32 s1, s13, 0
	v_mov_b32_e32 v1, s1
	v_add_co_u32_e64 v0, s[0:1], s0, v32
	v_addc_co_u32_e64 v1, s[0:1], v1, v33, s[0:1]
	global_load_dwordx2 v[3:4], v[0:1], off offset:176
	global_load_dwordx2 v[6:7], v[0:1], off offset:352
	ds_read_b64 v[8:9], v36 offset:176
	ds_read_b64 v[10:11], v2 offset:1056
	v_cmp_gt_u32_e64 s[0:1], 11, v28
	s_waitcnt lgkmcnt(0)
	v_add_f32_e32 v12, v8, v10
	v_add_f32_e32 v13, v11, v9
	v_sub_f32_e32 v14, v8, v10
	v_sub_f32_e32 v8, v9, v11
	s_waitcnt vmcnt(1)
	v_fma_f32 v15, v14, v4, v12
	v_fma_f32 v9, v13, v4, v8
	v_fma_f32 v10, -v14, v4, v12
	v_fma_f32 v11, v13, v4, -v8
	v_fma_f32 v8, -v3, v13, v15
	v_fmac_f32_e32 v9, v14, v3
	v_fmac_f32_e32 v10, v3, v13
	;; [unrolled: 1-line block ×3, first 2 shown]
	ds_write_b64 v36, v[8:9] offset:176
	ds_write_b64 v2, v[10:11] offset:1056
	ds_read_b64 v[3:4], v36 offset:352
	ds_read_b64 v[8:9], v2 offset:880
	s_waitcnt lgkmcnt(0)
	v_add_f32_e32 v10, v3, v8
	v_add_f32_e32 v11, v9, v4
	v_sub_f32_e32 v12, v3, v8
	v_sub_f32_e32 v3, v4, v9
	s_waitcnt vmcnt(0)
	v_fma_f32 v13, v12, v7, v10
	v_fma_f32 v4, v11, v7, v3
	v_fma_f32 v8, -v12, v7, v10
	v_fma_f32 v9, v11, v7, -v3
	v_fma_f32 v3, -v6, v11, v13
	v_fmac_f32_e32 v4, v12, v6
	v_fmac_f32_e32 v8, v6, v11
	v_fmac_f32_e32 v9, v12, v6
	ds_write_b64 v36, v[3:4] offset:352
	ds_write_b64 v2, v[8:9] offset:880
	s_and_saveexec_b64 s[2:3], s[0:1]
	s_cbranch_execz .LBB0_20
; %bb.19:
	global_load_dwordx2 v[0:1], v[0:1], off offset:528
	ds_read_b64 v[3:4], v36 offset:528
	ds_read_b64 v[6:7], v2 offset:704
	s_waitcnt lgkmcnt(0)
	v_add_f32_e32 v8, v3, v6
	v_add_f32_e32 v9, v7, v4
	v_sub_f32_e32 v10, v3, v6
	v_sub_f32_e32 v3, v4, v7
	s_waitcnt vmcnt(0)
	v_fma_f32 v11, v10, v1, v8
	v_fma_f32 v4, v9, v1, v3
	v_fma_f32 v6, -v10, v1, v8
	v_fma_f32 v7, v9, v1, -v3
	v_fma_f32 v3, -v0, v9, v11
	v_fmac_f32_e32 v4, v10, v0
	v_fmac_f32_e32 v6, v0, v9
	;; [unrolled: 1-line block ×3, first 2 shown]
	ds_write_b64 v36, v[3:4] offset:528
	ds_write_b64 v2, v[6:7] offset:704
.LBB0_20:
	s_or_b64 exec, exec, s[2:3]
	v_lshl_add_u32 v37, v28, 3, 0
	v_lshl_add_u32 v29, v5, 3, v37
	s_waitcnt lgkmcnt(0)
	s_barrier
	s_barrier
	ds_read2_b64 v[20:23], v29 offset0:14 offset1:28
	ds_read2_b64 v[4:7], v29 offset0:126 offset1:140
	ds_read_b64 v[0:1], v36
	s_mov_b32 s8, 0xbf27a4f4
	s_mov_b32 s9, 0xbe11bafb
	;; [unrolled: 1-line block ×3, first 2 shown]
	s_waitcnt lgkmcnt(1)
	v_sub_f32_e32 v48, v21, v7
	v_add_f32_e32 v38, v6, v20
	v_mul_f32_e32 v58, 0xbf4178ce, v48
	v_sub_f32_e32 v49, v23, v5
	v_fma_f32 v2, v38, s8, -v58
	v_add_f32_e32 v39, v4, v22
	v_mul_f32_e32 v59, 0x3f7d64f0, v49
	s_waitcnt lgkmcnt(0)
	v_add_f32_e32 v2, v0, v2
	v_fma_f32 v8, v39, s9, -v59
	v_add_f32_e32 v2, v8, v2
	ds_read2_b64 v[12:15], v29 offset0:42 offset1:56
	ds_read2_b64 v[8:11], v29 offset0:98 offset1:112
	v_add_f32_e32 v50, v7, v21
	v_mul_f32_e32 v60, 0xbf27a4f4, v50
	v_add_f32_e32 v51, v5, v23
	v_sub_f32_e32 v40, v20, v6
	v_mov_b32_e32 v3, v60
	v_mul_f32_e32 v61, 0xbe11bafb, v51
	v_fmac_f32_e32 v3, 0xbf4178ce, v40
	v_sub_f32_e32 v41, v22, v4
	v_mov_b32_e32 v16, v61
	s_waitcnt lgkmcnt(0)
	v_sub_f32_e32 v52, v13, v11
	v_add_f32_e32 v3, v1, v3
	v_fmac_f32_e32 v16, 0x3f7d64f0, v41
	v_add_f32_e32 v42, v10, v12
	v_mul_f32_e32 v62, 0xbf0a6770, v52
	v_add_f32_e32 v54, v11, v13
	v_add_f32_e32 v3, v16, v3
	v_fma_f32 v16, v42, s14, -v62
	v_mul_f32_e32 v64, 0x3f575c64, v54
	v_add_f32_e32 v2, v16, v2
	v_sub_f32_e32 v44, v12, v10
	v_mov_b32_e32 v16, v64
	v_sub_f32_e32 v53, v15, v9
	v_fmac_f32_e32 v16, 0xbf0a6770, v44
	s_mov_b32 s15, 0xbf75a155
	v_add_f32_e32 v43, v8, v14
	v_mul_f32_e32 v63, 0xbe903f40, v53
	v_add_f32_e32 v3, v16, v3
	v_fma_f32 v16, v43, s15, -v63
	v_add_f32_e32 v2, v16, v2
	ds_read2_b64 v[16:19], v29 offset0:70 offset1:84
	v_add_f32_e32 v56, v9, v15
	v_mul_f32_e32 v65, 0xbf75a155, v56
	v_sub_f32_e32 v45, v14, v8
	v_mov_b32_e32 v46, v65
	s_waitcnt lgkmcnt(0)
	v_add_f32_e32 v55, v19, v17
	v_fmac_f32_e32 v46, 0xbe903f40, v45
	v_mul_f32_e32 v67, 0x3ed4b147, v55
	v_sub_f32_e32 v57, v17, v19
	v_add_f32_e32 v3, v46, v3
	s_mov_b32 s16, 0x3ed4b147
	v_sub_f32_e32 v47, v16, v18
	v_mov_b32_e32 v68, v67
	v_add_f32_e32 v46, v18, v16
	v_mul_f32_e32 v66, 0x3f68dda4, v57
	v_fmac_f32_e32 v68, 0x3f68dda4, v47
	v_fma_f32 v69, v46, s16, -v66
	v_add_f32_e32 v2, v69, v2
	v_add_f32_e32 v3, v68, v3
	v_cmp_gt_u32_e64 s[2:3], 14, v28
	s_barrier
	s_and_saveexec_b64 s[6:7], s[2:3]
	s_cbranch_execz .LBB0_22
; %bb.21:
	v_mul_f32_e32 v70, 0xbe903f40, v40
	v_mov_b32_e32 v68, v70
	v_mul_f32_e32 v71, 0x3f0a6770, v41
	v_fmac_f32_e32 v68, 0xbf75a155, v50
	v_mov_b32_e32 v69, v71
	v_add_f32_e32 v68, v1, v68
	v_fmac_f32_e32 v69, 0x3f575c64, v51
	v_mul_f32_e32 v72, 0xbf4178ce, v44
	v_add_f32_e32 v68, v69, v68
	v_mov_b32_e32 v69, v72
	v_fmac_f32_e32 v69, 0xbf27a4f4, v54
	v_mul_f32_e32 v73, 0x3f68dda4, v45
	v_add_f32_e32 v68, v69, v68
	v_mov_b32_e32 v69, v73
	;; [unrolled: 4-line block ×3, first 2 shown]
	v_fmac_f32_e32 v69, 0xbe11bafb, v55
	v_mul_f32_e32 v75, 0xbe903f40, v48
	v_add_f32_e32 v69, v69, v68
	v_fma_f32 v68, v38, s15, -v75
	v_mul_f32_e32 v76, 0x3f0a6770, v49
	v_add_f32_e32 v68, v0, v68
	v_fma_f32 v77, v39, s14, -v76
	v_add_f32_e32 v68, v77, v68
	v_mul_f32_e32 v77, 0xbf4178ce, v52
	v_fma_f32 v78, v42, s8, -v77
	v_add_f32_e32 v68, v78, v68
	v_mul_f32_e32 v78, 0x3f68dda4, v53
	v_fma_f32 v70, v50, s15, -v70
	v_fma_f32 v79, v43, s16, -v78
	v_add_f32_e32 v70, v1, v70
	v_fma_f32 v71, v51, s14, -v71
	v_add_f32_e32 v68, v79, v68
	v_mul_f32_e32 v79, 0xbf7d64f0, v57
	v_add_f32_e32 v70, v71, v70
	v_fma_f32 v71, v54, s8, -v72
	v_fma_f32 v80, v46, s9, -v79
	v_add_f32_e32 v70, v71, v70
	v_fma_f32 v71, v56, s16, -v73
	v_fmac_f32_e32 v75, 0xbf75a155, v38
	v_add_f32_e32 v68, v80, v68
	v_mul_f32_e32 v80, 0xbf27a4f4, v38
	v_add_f32_e32 v70, v71, v70
	v_add_f32_e32 v71, v0, v75
	v_fmac_f32_e32 v76, 0x3f575c64, v39
	v_mul_f32_e32 v81, 0xbf4178ce, v40
	v_mul_f32_e32 v72, 0xbe11bafb, v39
	v_add_f32_e32 v71, v76, v71
	v_fmac_f32_e32 v77, 0xbf27a4f4, v42
	v_add_f32_e32 v58, v80, v58
	v_mul_f32_e32 v73, 0x3f7d64f0, v41
	v_mul_f32_e32 v75, 0x3f575c64, v42
	v_add_f32_e32 v71, v77, v71
	v_fmac_f32_e32 v78, 0x3ed4b147, v43
	v_sub_f32_e32 v60, v60, v81
	v_add_f32_e32 v58, v0, v58
	v_add_f32_e32 v59, v72, v59
	v_mul_f32_e32 v76, 0xbf0a6770, v44
	v_add_f32_e32 v77, v78, v71
	v_mul_f32_e32 v78, 0xbf75a155, v43
	v_fma_f32 v71, v55, s9, -v74
	v_fmac_f32_e32 v79, 0xbe11bafb, v46
	v_add_f32_e32 v60, v1, v60
	v_sub_f32_e32 v61, v61, v73
	v_add_f32_e32 v58, v59, v58
	v_add_f32_e32 v59, v75, v62
	;; [unrolled: 1-line block ×4, first 2 shown]
	v_mul_f32_e32 v74, 0xbe903f40, v45
	v_mul_f32_e32 v77, 0x3ed4b147, v46
	v_add_f32_e32 v60, v61, v60
	v_sub_f32_e32 v61, v64, v76
	v_add_f32_e32 v58, v59, v58
	v_add_f32_e32 v59, v78, v63
	v_mul_f32_e32 v79, 0x3f68dda4, v47
	v_add_f32_e32 v60, v61, v60
	v_sub_f32_e32 v61, v65, v74
	v_add_f32_e32 v58, v59, v58
	v_add_f32_e32 v59, v77, v66
	;; [unrolled: 1-line block ×3, first 2 shown]
	v_sub_f32_e32 v61, v67, v79
	v_add_f32_e32 v59, v59, v58
	v_mul_f32_e32 v58, 0xbe11bafb, v50
	v_add_f32_e32 v60, v61, v60
	v_mov_b32_e32 v61, v58
	v_mul_f32_e32 v63, 0xbf75a155, v51
	v_fmac_f32_e32 v61, 0x3f7d64f0, v40
	v_mov_b32_e32 v62, v63
	v_add_f32_e32 v61, v1, v61
	v_fmac_f32_e32 v62, 0xbe903f40, v41
	v_mul_f32_e32 v64, 0x3ed4b147, v54
	v_add_f32_e32 v61, v62, v61
	v_mov_b32_e32 v62, v64
	v_fmac_f32_e32 v62, 0xbf68dda4, v44
	v_mul_f32_e32 v65, 0x3f575c64, v56
	v_add_f32_e32 v61, v62, v61
	v_mov_b32_e32 v62, v65
	;; [unrolled: 4-line block ×4, first 2 shown]
	v_mul_f32_e32 v72, 0x3e903f40, v49
	v_fmac_f32_e32 v61, 0xbe11bafb, v38
	v_mov_b32_e32 v73, v72
	v_add_f32_e32 v61, v0, v61
	v_fmac_f32_e32 v73, 0xbf75a155, v39
	v_add_f32_e32 v61, v73, v61
	v_mul_f32_e32 v73, 0x3f68dda4, v52
	v_mov_b32_e32 v74, v73
	v_fmac_f32_e32 v74, 0x3ed4b147, v42
	v_add_f32_e32 v61, v74, v61
	v_mul_f32_e32 v74, 0xbf0a6770, v53
	v_add_f32_e32 v21, v1, v21
	v_mov_b32_e32 v75, v74
	v_add_f32_e32 v21, v21, v23
	v_fmac_f32_e32 v75, 0x3f575c64, v43
	v_add_f32_e32 v13, v21, v13
	v_add_f32_e32 v61, v75, v61
	v_mul_f32_e32 v75, 0xbf4178ce, v57
	v_add_f32_e32 v20, v0, v20
	v_add_f32_e32 v15, v13, v15
	v_mov_b32_e32 v76, v75
	v_add_f32_e32 v20, v20, v22
	v_add_f32_e32 v15, v15, v17
	v_fmac_f32_e32 v76, 0xbf27a4f4, v46
	v_add_f32_e32 v12, v20, v12
	v_add_f32_e32 v17, v15, v19
	;; [unrolled: 1-line block ×3, first 2 shown]
	v_mul_f32_e32 v76, 0x3ed4b147, v50
	v_add_f32_e32 v12, v12, v14
	v_add_f32_e32 v9, v17, v9
	v_mov_b32_e32 v77, v76
	v_mul_f32_e32 v78, 0xbf27a4f4, v51
	v_add_f32_e32 v12, v12, v16
	v_add_f32_e32 v9, v9, v11
	v_fmac_f32_e32 v77, 0x3f68dda4, v40
	v_mov_b32_e32 v79, v78
	v_mul_f32_e32 v22, 0xbf75a155, v54
	v_add_f32_e32 v16, v12, v18
	v_add_f32_e32 v5, v9, v5
	v_add_f32_e32 v77, v1, v77
	v_fmac_f32_e32 v79, 0x3f4178ce, v41
	v_mov_b32_e32 v23, v22
	v_mul_f32_e32 v80, 0xbf68dda4, v48
	v_add_f32_e32 v5, v5, v7
	;; [unrolled: 6-line block ×3, first 2 shown]
	v_add_f32_e32 v23, v23, v77
	v_mul_f32_e32 v77, 0xbe11bafb, v56
	v_fmac_f32_e32 v13, 0x3ed4b147, v38
	v_mov_b32_e32 v14, v20
	v_add_f32_e32 v4, v7, v4
	v_fmac_f32_e32 v58, 0xbf7d64f0, v40
	v_mov_b32_e32 v79, v77
	v_add_f32_e32 v13, v0, v13
	v_fmac_f32_e32 v14, 0xbf27a4f4, v39
	v_mul_f32_e32 v21, 0x3e903f40, v52
	v_add_f32_e32 v4, v4, v6
	v_add_f32_e32 v6, v1, v58
	v_fmac_f32_e32 v63, 0x3e903f40, v41
	v_fmac_f32_e32 v79, 0xbf7d64f0, v45
	v_add_f32_e32 v13, v14, v13
	v_mov_b32_e32 v14, v21
	v_mul_f32_e32 v18, 0x3f7d64f0, v53
	v_add_f32_e32 v6, v63, v6
	v_fmac_f32_e32 v64, 0x3f68dda4, v44
	v_add_f32_e32 v23, v79, v23
	v_mul_f32_e32 v79, 0x3f575c64, v55
	v_fmac_f32_e32 v14, 0xbf75a155, v42
	v_mov_b32_e32 v12, v18
	v_add_f32_e32 v6, v64, v6
	v_fmac_f32_e32 v65, 0xbf0a6770, v45
	v_add_f32_e32 v14, v14, v13
	v_mov_b32_e32 v13, v79
	v_fmac_f32_e32 v12, 0xbe11bafb, v43
	v_mul_f32_e32 v19, 0x3f0a6770, v57
	v_add_f32_e32 v6, v65, v6
	v_fmac_f32_e32 v66, 0xbf4178ce, v47
	v_fmac_f32_e32 v13, 0xbf0a6770, v47
	v_add_f32_e32 v12, v12, v14
	v_mov_b32_e32 v14, v19
	v_add_f32_e32 v7, v66, v6
	v_fma_f32 v6, v38, s9, -v67
	v_add_f32_e32 v13, v13, v23
	v_fmac_f32_e32 v14, 0x3f575c64, v46
	v_mul_f32_e32 v23, 0x3f575c64, v50
	v_add_f32_e32 v6, v0, v6
	v_fma_f32 v8, v39, s15, -v72
	v_add_f32_e32 v12, v14, v12
	v_mov_b32_e32 v14, v23
	v_mul_f32_e32 v50, 0x3ed4b147, v51
	v_add_f32_e32 v6, v8, v6
	v_fma_f32 v8, v42, s16, -v73
	v_fmac_f32_e32 v14, 0x3f0a6770, v40
	v_mov_b32_e32 v15, v50
	v_add_f32_e32 v6, v8, v6
	v_fma_f32 v8, v43, s14, -v74
	v_add_f32_e32 v14, v1, v14
	v_fmac_f32_e32 v15, 0x3f68dda4, v41
	v_mul_f32_e32 v51, 0xbe11bafb, v54
	v_add_f32_e32 v6, v8, v6
	v_fma_f32 v8, v46, s8, -v75
	v_fmac_f32_e32 v76, 0xbf68dda4, v40
	v_add_f32_e32 v14, v15, v14
	v_mov_b32_e32 v15, v51
	v_add_f32_e32 v6, v8, v6
	v_add_f32_e32 v8, v1, v76
	v_fmac_f32_e32 v78, 0xbf4178ce, v41
	v_fmac_f32_e32 v15, 0x3f7d64f0, v44
	v_mul_f32_e32 v54, 0xbf27a4f4, v56
	v_add_f32_e32 v8, v78, v8
	v_fmac_f32_e32 v22, 0x3e903f40, v44
	v_add_f32_e32 v14, v15, v14
	v_mov_b32_e32 v15, v54
	v_add_f32_e32 v8, v22, v8
	v_fmac_f32_e32 v77, 0x3f7d64f0, v45
	v_fmac_f32_e32 v15, 0x3f4178ce, v45
	v_mul_f32_e32 v48, 0xbf0a6770, v48
	v_add_f32_e32 v8, v77, v8
	v_fmac_f32_e32 v79, 0x3f0a6770, v47
	v_add_f32_e32 v14, v15, v14
	v_mov_b32_e32 v15, v48
	v_mul_f32_e32 v49, 0xbf68dda4, v49
	v_add_f32_e32 v9, v79, v8
	v_fma_f32 v8, v38, s16, -v80
	v_fmac_f32_e32 v15, 0x3f575c64, v38
	v_mov_b32_e32 v56, v49
	v_add_f32_e32 v8, v0, v8
	v_fma_f32 v10, v39, s8, -v20
	v_add_f32_e32 v15, v0, v15
	v_fmac_f32_e32 v56, 0x3ed4b147, v39
	v_mul_f32_e32 v52, 0xbf7d64f0, v52
	v_add_f32_e32 v8, v10, v8
	v_fma_f32 v10, v42, s15, -v21
	v_add_f32_e32 v15, v56, v15
	v_mov_b32_e32 v56, v52
	v_add_f32_e32 v8, v10, v8
	v_fma_f32 v10, v43, s9, -v18
	v_fmac_f32_e32 v56, 0xbe11bafb, v42
	v_mul_f32_e32 v53, 0xbf4178ce, v53
	v_add_f32_e32 v8, v10, v8
	v_fma_f32 v10, v46, s14, -v19
	v_add_f32_e32 v15, v56, v15
	v_mov_b32_e32 v56, v53
	v_add_f32_e32 v8, v10, v8
	v_fma_f32 v10, v38, s14, -v48
	v_fmac_f32_e32 v56, 0xbf27a4f4, v43
	v_mul_f32_e32 v55, 0xbf75a155, v55
	v_add_f32_e32 v0, v0, v10
	v_fma_f32 v10, v39, s16, -v49
	v_add_f32_e32 v56, v56, v15
	v_mov_b32_e32 v15, v55
	v_fmac_f32_e32 v23, 0xbf0a6770, v40
	v_add_f32_e32 v0, v10, v0
	v_fma_f32 v10, v42, s9, -v52
	v_fmac_f32_e32 v15, 0x3e903f40, v47
	v_mul_f32_e32 v57, 0xbe903f40, v57
	v_add_f32_e32 v1, v1, v23
	v_fmac_f32_e32 v50, 0xbf68dda4, v41
	v_add_f32_e32 v0, v10, v0
	v_fma_f32 v10, v43, s8, -v53
	v_add_f32_e32 v15, v15, v14
	v_mov_b32_e32 v14, v57
	v_add_f32_e32 v1, v50, v1
	v_fmac_f32_e32 v51, 0xbf7d64f0, v44
	v_add_f32_e32 v0, v10, v0
	v_fma_f32 v10, v46, s15, -v57
	v_fmac_f32_e32 v14, 0xbf75a155, v46
	v_add_f32_e32 v1, v51, v1
	v_fmac_f32_e32 v54, 0xbf4178ce, v45
	v_add_f32_e32 v0, v10, v0
	v_mul_u32_u24_e32 v10, 0x50, v28
	v_add_f32_e32 v14, v14, v56
	v_add_f32_e32 v1, v54, v1
	v_fmac_f32_e32 v55, 0xbe903f40, v47
	v_add3_u32 v10, v37, v10, v35
	v_add_f32_e32 v1, v55, v1
	ds_write2_b64 v10, v[4:5], v[14:15] offset1:1
	ds_write2_b64 v10, v[12:13], v[61:62] offset0:2 offset1:3
	ds_write2_b64 v10, v[59:60], v[70:71] offset0:4 offset1:5
	;; [unrolled: 1-line block ×4, first 2 shown]
	ds_write_b64 v10, v[0:1] offset:80
.LBB0_22:
	s_or_b64 exec, exec, s[6:7]
	v_add_u32_e32 v12, -11, v28
	v_cndmask_b32_e64 v21, v12, v28, s[0:1]
	v_mul_i32_i24_e32 v0, 6, v21
	v_mov_b32_e32 v1, 0
	v_lshlrev_b64 v[0:1], 3, v[0:1]
	v_mov_b32_e32 v4, s13
	v_add_co_u32_e64 v0, s[2:3], s12, v0
	v_addc_co_u32_e64 v1, s[2:3], v4, v1, s[2:3]
	s_waitcnt lgkmcnt(0)
	s_barrier
	global_load_dwordx4 v[4:7], v[0:1], off
	global_load_dwordx4 v[8:11], v[0:1], off offset:16
	global_load_dwordx4 v[13:16], v[0:1], off offset:32
	ds_read_b64 v[0:1], v36
	ds_read2_b64 v[17:20], v29 offset0:22 offset1:44
	ds_read2_b64 v[37:40], v29 offset0:66 offset1:88
	;; [unrolled: 1-line block ×3, first 2 shown]
	s_mov_b32 s3, 0x3f3bfb3b
	s_mov_b32 s2, 0xbf5ff5aa
	s_waitcnt vmcnt(0) lgkmcnt(0)
	s_barrier
	v_mul_f32_e32 v22, v5, v18
	v_mul_f32_e32 v5, v5, v17
	;; [unrolled: 1-line block ×12, first 2 shown]
	v_fmac_f32_e32 v22, v4, v17
	v_fma_f32 v4, v4, v18, -v5
	v_fmac_f32_e32 v23, v6, v19
	v_fma_f32 v5, v6, v20, -v7
	;; [unrolled: 2-line block ×6, first 2 shown]
	v_add_f32_e32 v10, v22, v48
	v_add_f32_e32 v11, v4, v9
	v_sub_f32_e32 v4, v4, v9
	v_add_f32_e32 v9, v23, v47
	v_add_f32_e32 v14, v5, v8
	v_sub_f32_e32 v15, v23, v47
	v_sub_f32_e32 v5, v5, v8
	v_add_f32_e32 v8, v45, v46
	v_add_f32_e32 v16, v6, v7
	v_sub_f32_e32 v17, v46, v45
	;; [unrolled: 4-line block ×3, first 2 shown]
	v_sub_f32_e32 v19, v9, v10
	v_sub_f32_e32 v20, v14, v11
	;; [unrolled: 1-line block ×5, first 2 shown]
	v_add_f32_e32 v22, v17, v15
	v_add_f32_e32 v7, v8, v7
	;; [unrolled: 1-line block ×3, first 2 shown]
	v_sub_f32_e32 v11, v11, v16
	v_add_f32_e32 v23, v6, v5
	v_sub_f32_e32 v37, v17, v15
	v_sub_f32_e32 v38, v6, v5
	;; [unrolled: 1-line block ×5, first 2 shown]
	v_add_f32_e32 v13, v22, v13
	v_mul_f32_e32 v18, 0x3d64c772, v9
	v_mul_f32_e32 v22, 0x3d64c772, v14
	v_add_f32_e32 v5, v8, v1
	v_sub_f32_e32 v6, v4, v6
	v_add_f32_e32 v16, v23, v4
	v_mul_f32_e32 v11, 0x3f4a47b2, v11
	v_mul_f32_e32 v23, 0x3f08b237, v37
	;; [unrolled: 1-line block ×3, first 2 shown]
	v_add_f32_e32 v4, v7, v0
	v_fma_f32 v0, v19, s3, -v18
	v_fma_f32 v1, v20, s3, -v22
	v_mov_b32_e32 v22, v5
	s_mov_b32 s3, 0xbf3bfb3b
	v_mul_f32_e32 v38, 0xbf5ff5aa, v15
	v_fmac_f32_e32 v22, 0xbf955555, v8
	v_fma_f32 v8, v20, s3, -v11
	v_fmac_f32_e32 v11, 0x3d64c772, v14
	v_fma_f32 v14, v15, s2, -v23
	v_fma_f32 v15, v39, s2, -v37
	s_mov_b32 s2, 0x3eae86e6
	v_mul_f32_e32 v10, 0x3f4a47b2, v10
	v_mul_f32_e32 v40, 0xbf5ff5aa, v39
	v_mov_b32_e32 v18, v4
	v_fmac_f32_e32 v23, 0xbeae86e6, v17
	v_fma_f32 v17, v17, s2, -v38
	v_fmac_f32_e32 v18, 0xbf955555, v7
	v_fma_f32 v7, v19, s3, -v10
	;; [unrolled: 2-line block ×3, first 2 shown]
	v_add_f32_e32 v38, v11, v22
	v_add_f32_e32 v1, v1, v22
	;; [unrolled: 1-line block ×3, first 2 shown]
	v_fmac_f32_e32 v17, 0xbee1c552, v13
	v_fmac_f32_e32 v10, 0x3d64c772, v9
	;; [unrolled: 1-line block ×5, first 2 shown]
	v_sub_f32_e32 v9, v22, v17
	v_add_f32_e32 v16, v17, v22
	v_mov_b32_e32 v17, 0x268
	v_cmp_lt_u32_e64 s[2:3], 10, v28
	v_add_f32_e32 v20, v10, v18
	v_add_f32_e32 v0, v0, v18
	;; [unrolled: 1-line block ×3, first 2 shown]
	v_cndmask_b32_e64 v17, 0, v17, s[2:3]
	v_fmac_f32_e32 v23, 0xbee1c552, v13
	v_fmac_f32_e32 v14, 0xbee1c552, v13
	v_add_f32_e32 v8, v19, v18
	v_sub_f32_e32 v10, v0, v15
	v_add_f32_e32 v13, v15, v0
	v_sub_f32_e32 v15, v18, v19
	v_add_u32_e32 v17, 0, v17
	v_lshlrev_b32_e32 v18, 3, v21
	v_add_f32_e32 v6, v37, v20
	v_sub_f32_e32 v7, v38, v23
	v_add_f32_e32 v11, v14, v1
	v_sub_f32_e32 v14, v1, v14
	v_add3_u32 v17, v17, v18, v35
	v_sub_f32_e32 v0, v20, v37
	v_add_f32_e32 v1, v23, v38
	ds_write2_b64 v17, v[4:5], v[6:7] offset1:11
	ds_write2_b64 v17, v[8:9], v[10:11] offset0:22 offset1:33
	ds_write2_b64 v17, v[13:14], v[15:16] offset0:44 offset1:55
	ds_write_b64 v17, v[0:1] offset:528
	s_waitcnt lgkmcnt(0)
	s_barrier
	ds_read2_b64 v[8:11], v29 offset0:77 offset1:99
	ds_read2_b64 v[4:7], v29 offset0:22 offset1:44
	ds_read_b64 v[13:14], v36
	ds_read_b64 v[15:16], v29 offset:968
	s_and_saveexec_b64 s[2:3], s[0:1]
	s_cbranch_execz .LBB0_24
; %bb.23:
	ds_read2_b64 v[0:3], v29 offset0:66 offset1:143
	v_add_u32_e32 v12, 0x42, v28
.LBB0_24:
	s_or_b64 exec, exec, s[2:3]
	v_mov_b32_e32 v20, s13
	v_add_co_u32_e64 v17, s[2:3], s12, v30
	v_addc_co_u32_e64 v18, s[2:3], v20, v31, s[2:3]
	v_add_co_u32_e64 v19, s[2:3], s12, v32
	global_load_dwordx2 v[17:18], v[17:18], off offset:528
	v_addc_co_u32_e64 v20, s[2:3], v20, v33, s[2:3]
	global_load_dwordx2 v[21:22], v[19:20], off offset:704
	global_load_dwordx2 v[30:31], v[19:20], off offset:880
	s_waitcnt vmcnt(0) lgkmcnt(0)
	s_barrier
	v_mul_f32_e32 v19, v18, v9
	v_mul_f32_e32 v18, v18, v8
	;; [unrolled: 1-line block ×6, first 2 shown]
	v_fmac_f32_e32 v19, v17, v8
	v_fma_f32 v9, v17, v9, -v18
	v_fmac_f32_e32 v20, v21, v10
	v_fma_f32 v11, v21, v11, -v22
	;; [unrolled: 2-line block ×3, first 2 shown]
	v_sub_f32_e32 v8, v13, v19
	v_sub_f32_e32 v9, v14, v9
	;; [unrolled: 1-line block ×6, first 2 shown]
	v_fma_f32 v13, v13, 2.0, -v8
	v_fma_f32 v14, v14, 2.0, -v9
	;; [unrolled: 1-line block ×6, first 2 shown]
	ds_write2_b64 v29, v[13:14], v[4:5] offset1:22
	ds_write2_b64 v29, v[6:7], v[8:9] offset0:44 offset1:77
	ds_write2_b64 v29, v[10:11], v[15:16] offset0:99 offset1:121
	s_and_saveexec_b64 s[2:3], s[0:1]
	s_cbranch_execz .LBB0_26
; %bb.25:
	v_mov_b32_e32 v13, 0
	v_lshlrev_b64 v[4:5], 3, v[12:13]
	v_mov_b32_e32 v6, s13
	v_add_co_u32_e64 v4, s[0:1], s12, v4
	v_addc_co_u32_e64 v5, s[0:1], v6, v5, s[0:1]
	global_load_dwordx2 v[4:5], v[4:5], off offset:528
	s_waitcnt vmcnt(0)
	v_mul_f32_e32 v6, v2, v5
	v_mul_f32_e32 v5, v3, v5
	v_fma_f32 v3, v3, v4, -v6
	v_fmac_f32_e32 v5, v2, v4
	v_sub_f32_e32 v3, v1, v3
	v_sub_f32_e32 v2, v0, v5
	v_fma_f32 v1, v1, 2.0, -v3
	v_fma_f32 v0, v0, 2.0, -v2
	ds_write2_b64 v29, v[0:1], v[2:3] offset0:66 offset1:143
.LBB0_26:
	s_or_b64 exec, exec, s[2:3]
	s_waitcnt lgkmcnt(0)
	s_barrier
	s_and_saveexec_b64 s[0:1], vcc
	s_cbranch_execz .LBB0_28
; %bb.27:
	v_mul_lo_u32 v0, s5, v26
	v_mul_lo_u32 v1, s4, v27
	v_mad_u64_u32 v[4:5], s[0:1], s4, v26, 0
	v_mov_b32_e32 v7, s11
	v_lshl_add_u32 v6, v28, 3, v34
	v_add3_u32 v5, v5, v1, v0
	v_lshlrev_b64 v[4:5], 3, v[4:5]
	v_mov_b32_e32 v29, 0
	v_add_co_u32_e32 v8, vcc, s10, v4
	v_addc_co_u32_e32 v7, vcc, v7, v5, vcc
	v_lshlrev_b64 v[4:5], 3, v[24:25]
	ds_read2_b64 v[0:3], v6 offset1:22
	v_add_co_u32_e32 v8, vcc, v8, v4
	v_addc_co_u32_e32 v7, vcc, v7, v5, vcc
	v_lshlrev_b64 v[4:5], 3, v[28:29]
	v_add_co_u32_e32 v4, vcc, v8, v4
	v_addc_co_u32_e32 v5, vcc, v7, v5, vcc
	s_waitcnt lgkmcnt(0)
	global_store_dwordx2 v[4:5], v[0:1], off
	v_add_u32_e32 v0, 22, v28
	v_mov_b32_e32 v1, v29
	v_lshlrev_b64 v[0:1], 3, v[0:1]
	v_add_u32_e32 v4, 44, v28
	v_add_co_u32_e32 v0, vcc, v8, v0
	v_addc_co_u32_e32 v1, vcc, v7, v1, vcc
	global_store_dwordx2 v[0:1], v[2:3], off
	v_mov_b32_e32 v5, v29
	ds_read2_b64 v[0:3], v6 offset0:44 offset1:66
	v_lshlrev_b64 v[4:5], 3, v[4:5]
	v_add_co_u32_e32 v4, vcc, v8, v4
	v_addc_co_u32_e32 v5, vcc, v7, v5, vcc
	s_waitcnt lgkmcnt(0)
	global_store_dwordx2 v[4:5], v[0:1], off
	v_add_u32_e32 v0, 0x42, v28
	v_mov_b32_e32 v1, v29
	v_lshlrev_b64 v[0:1], 3, v[0:1]
	v_add_u32_e32 v4, 0x58, v28
	v_add_co_u32_e32 v0, vcc, v8, v0
	v_addc_co_u32_e32 v1, vcc, v7, v1, vcc
	global_store_dwordx2 v[0:1], v[2:3], off
	v_mov_b32_e32 v5, v29
	ds_read2_b64 v[0:3], v6 offset0:88 offset1:110
	v_lshlrev_b64 v[4:5], 3, v[4:5]
	v_add_co_u32_e32 v4, vcc, v8, v4
	v_addc_co_u32_e32 v5, vcc, v7, v5, vcc
	s_waitcnt lgkmcnt(0)
	global_store_dwordx2 v[4:5], v[0:1], off
	v_add_u32_e32 v0, 0x6e, v28
	v_mov_b32_e32 v1, v29
	v_lshlrev_b64 v[0:1], 3, v[0:1]
	v_add_u32_e32 v28, 0x84, v28
	v_add_co_u32_e32 v0, vcc, v8, v0
	v_addc_co_u32_e32 v1, vcc, v7, v1, vcc
	global_store_dwordx2 v[0:1], v[2:3], off
	ds_read_b64 v[0:1], v6 offset:1056
	v_lshlrev_b64 v[2:3], 3, v[28:29]
	v_add_co_u32_e32 v2, vcc, v8, v2
	v_addc_co_u32_e32 v3, vcc, v7, v3, vcc
	s_waitcnt lgkmcnt(0)
	global_store_dwordx2 v[2:3], v[0:1], off
.LBB0_28:
	s_endpgm
	.section	.rodata,"a",@progbits
	.p2align	6, 0x0
	.amdhsa_kernel fft_rtc_back_len154_factors_11_7_2_wgs_110_tpt_22_sp_op_CI_CI_unitstride_sbrr_C2R_dirReg
		.amdhsa_group_segment_fixed_size 0
		.amdhsa_private_segment_fixed_size 0
		.amdhsa_kernarg_size 104
		.amdhsa_user_sgpr_count 6
		.amdhsa_user_sgpr_private_segment_buffer 1
		.amdhsa_user_sgpr_dispatch_ptr 0
		.amdhsa_user_sgpr_queue_ptr 0
		.amdhsa_user_sgpr_kernarg_segment_ptr 1
		.amdhsa_user_sgpr_dispatch_id 0
		.amdhsa_user_sgpr_flat_scratch_init 0
		.amdhsa_user_sgpr_private_segment_size 0
		.amdhsa_uses_dynamic_stack 0
		.amdhsa_system_sgpr_private_segment_wavefront_offset 0
		.amdhsa_system_sgpr_workgroup_id_x 1
		.amdhsa_system_sgpr_workgroup_id_y 0
		.amdhsa_system_sgpr_workgroup_id_z 0
		.amdhsa_system_sgpr_workgroup_info 0
		.amdhsa_system_vgpr_workitem_id 0
		.amdhsa_next_free_vgpr 82
		.amdhsa_next_free_sgpr 28
		.amdhsa_reserve_vcc 1
		.amdhsa_reserve_flat_scratch 0
		.amdhsa_float_round_mode_32 0
		.amdhsa_float_round_mode_16_64 0
		.amdhsa_float_denorm_mode_32 3
		.amdhsa_float_denorm_mode_16_64 3
		.amdhsa_dx10_clamp 1
		.amdhsa_ieee_mode 1
		.amdhsa_fp16_overflow 0
		.amdhsa_exception_fp_ieee_invalid_op 0
		.amdhsa_exception_fp_denorm_src 0
		.amdhsa_exception_fp_ieee_div_zero 0
		.amdhsa_exception_fp_ieee_overflow 0
		.amdhsa_exception_fp_ieee_underflow 0
		.amdhsa_exception_fp_ieee_inexact 0
		.amdhsa_exception_int_div_zero 0
	.end_amdhsa_kernel
	.text
.Lfunc_end0:
	.size	fft_rtc_back_len154_factors_11_7_2_wgs_110_tpt_22_sp_op_CI_CI_unitstride_sbrr_C2R_dirReg, .Lfunc_end0-fft_rtc_back_len154_factors_11_7_2_wgs_110_tpt_22_sp_op_CI_CI_unitstride_sbrr_C2R_dirReg
                                        ; -- End function
	.section	.AMDGPU.csdata,"",@progbits
; Kernel info:
; codeLenInByte = 5980
; NumSgprs: 32
; NumVgprs: 82
; ScratchSize: 0
; MemoryBound: 0
; FloatMode: 240
; IeeeMode: 1
; LDSByteSize: 0 bytes/workgroup (compile time only)
; SGPRBlocks: 3
; VGPRBlocks: 20
; NumSGPRsForWavesPerEU: 32
; NumVGPRsForWavesPerEU: 82
; Occupancy: 3
; WaveLimiterHint : 1
; COMPUTE_PGM_RSRC2:SCRATCH_EN: 0
; COMPUTE_PGM_RSRC2:USER_SGPR: 6
; COMPUTE_PGM_RSRC2:TRAP_HANDLER: 0
; COMPUTE_PGM_RSRC2:TGID_X_EN: 1
; COMPUTE_PGM_RSRC2:TGID_Y_EN: 0
; COMPUTE_PGM_RSRC2:TGID_Z_EN: 0
; COMPUTE_PGM_RSRC2:TIDIG_COMP_CNT: 0
	.type	__hip_cuid_9b36a70b1c2a0473,@object ; @__hip_cuid_9b36a70b1c2a0473
	.section	.bss,"aw",@nobits
	.globl	__hip_cuid_9b36a70b1c2a0473
__hip_cuid_9b36a70b1c2a0473:
	.byte	0                               ; 0x0
	.size	__hip_cuid_9b36a70b1c2a0473, 1

	.ident	"AMD clang version 19.0.0git (https://github.com/RadeonOpenCompute/llvm-project roc-6.4.0 25133 c7fe45cf4b819c5991fe208aaa96edf142730f1d)"
	.section	".note.GNU-stack","",@progbits
	.addrsig
	.addrsig_sym __hip_cuid_9b36a70b1c2a0473
	.amdgpu_metadata
---
amdhsa.kernels:
  - .args:
      - .actual_access:  read_only
        .address_space:  global
        .offset:         0
        .size:           8
        .value_kind:     global_buffer
      - .offset:         8
        .size:           8
        .value_kind:     by_value
      - .actual_access:  read_only
        .address_space:  global
        .offset:         16
        .size:           8
        .value_kind:     global_buffer
      - .actual_access:  read_only
        .address_space:  global
        .offset:         24
        .size:           8
        .value_kind:     global_buffer
      - .actual_access:  read_only
        .address_space:  global
        .offset:         32
        .size:           8
        .value_kind:     global_buffer
      - .offset:         40
        .size:           8
        .value_kind:     by_value
      - .actual_access:  read_only
        .address_space:  global
        .offset:         48
        .size:           8
        .value_kind:     global_buffer
      - .actual_access:  read_only
        .address_space:  global
        .offset:         56
        .size:           8
        .value_kind:     global_buffer
      - .offset:         64
        .size:           4
        .value_kind:     by_value
      - .actual_access:  read_only
        .address_space:  global
        .offset:         72
        .size:           8
        .value_kind:     global_buffer
      - .actual_access:  read_only
        .address_space:  global
        .offset:         80
        .size:           8
        .value_kind:     global_buffer
      - .actual_access:  read_only
        .address_space:  global
        .offset:         88
        .size:           8
        .value_kind:     global_buffer
      - .actual_access:  write_only
        .address_space:  global
        .offset:         96
        .size:           8
        .value_kind:     global_buffer
    .group_segment_fixed_size: 0
    .kernarg_segment_align: 8
    .kernarg_segment_size: 104
    .language:       OpenCL C
    .language_version:
      - 2
      - 0
    .max_flat_workgroup_size: 110
    .name:           fft_rtc_back_len154_factors_11_7_2_wgs_110_tpt_22_sp_op_CI_CI_unitstride_sbrr_C2R_dirReg
    .private_segment_fixed_size: 0
    .sgpr_count:     32
    .sgpr_spill_count: 0
    .symbol:         fft_rtc_back_len154_factors_11_7_2_wgs_110_tpt_22_sp_op_CI_CI_unitstride_sbrr_C2R_dirReg.kd
    .uniform_work_group_size: 1
    .uses_dynamic_stack: false
    .vgpr_count:     82
    .vgpr_spill_count: 0
    .wavefront_size: 64
amdhsa.target:   amdgcn-amd-amdhsa--gfx906
amdhsa.version:
  - 1
  - 2
...

	.end_amdgpu_metadata
